;; amdgpu-corpus repo=ROCm/rocFFT kind=compiled arch=gfx906 opt=O3
	.text
	.amdgcn_target "amdgcn-amd-amdhsa--gfx906"
	.amdhsa_code_object_version 6
	.protected	fft_rtc_fwd_len192_factors_4_3_16_wgs_256_tpt_16_dim3_sp_ip_CI_sbcc_twdbase8_2step_dirReg_intrinsicReadWrite ; -- Begin function fft_rtc_fwd_len192_factors_4_3_16_wgs_256_tpt_16_dim3_sp_ip_CI_sbcc_twdbase8_2step_dirReg_intrinsicReadWrite
	.globl	fft_rtc_fwd_len192_factors_4_3_16_wgs_256_tpt_16_dim3_sp_ip_CI_sbcc_twdbase8_2step_dirReg_intrinsicReadWrite
	.p2align	8
	.type	fft_rtc_fwd_len192_factors_4_3_16_wgs_256_tpt_16_dim3_sp_ip_CI_sbcc_twdbase8_2step_dirReg_intrinsicReadWrite,@function
fft_rtc_fwd_len192_factors_4_3_16_wgs_256_tpt_16_dim3_sp_ip_CI_sbcc_twdbase8_2step_dirReg_intrinsicReadWrite: ; @fft_rtc_fwd_len192_factors_4_3_16_wgs_256_tpt_16_dim3_sp_ip_CI_sbcc_twdbase8_2step_dirReg_intrinsicReadWrite
; %bb.0:
	s_load_dwordx4 s[0:3], s[4:5], 0x10
	s_mov_b32 s7, 0
	s_mov_b64 s[20:21], 0
	s_waitcnt lgkmcnt(0)
	s_load_dwordx2 s[10:11], s[0:1], 0x8
	s_waitcnt lgkmcnt(0)
	s_add_u32 s8, s10, -1
	s_addc_u32 s9, s11, -1
	s_lshr_b64 s[8:9], s[8:9], 4
	s_add_u32 s18, s8, 1
	s_addc_u32 s19, s9, 0
	v_mov_b32_e32 v1, s18
	v_mov_b32_e32 v2, s19
	v_cmp_lt_u64_e32 vcc, s[6:7], v[1:2]
	s_cbranch_vccnz .LBB0_2
; %bb.1:
	v_cvt_f32_u32_e32 v1, s18
	s_sub_i32 s8, 0, s18
	s_mov_b32 s21, s7
	v_rcp_iflag_f32_e32 v1, v1
	v_mul_f32_e32 v1, 0x4f7ffffe, v1
	v_cvt_u32_f32_e32 v1, v1
	v_readfirstlane_b32 s9, v1
	s_mul_i32 s8, s8, s9
	s_mul_hi_u32 s8, s9, s8
	s_add_i32 s9, s9, s8
	s_mul_hi_u32 s8, s6, s9
	s_mul_i32 s12, s8, s18
	s_sub_i32 s12, s6, s12
	s_add_i32 s9, s8, 1
	s_sub_i32 s13, s12, s18
	s_cmp_ge_u32 s12, s18
	s_cselect_b32 s8, s9, s8
	s_cselect_b32 s12, s13, s12
	s_add_i32 s9, s8, 1
	s_cmp_ge_u32 s12, s18
	s_cselect_b32 s20, s9, s8
.LBB0_2:
	s_load_dwordx2 s[22:23], s[0:1], 0x10
	s_load_dwordx2 s[8:9], s[4:5], 0x50
	s_load_dwordx2 s[16:17], s[4:5], 0x0
	s_load_dwordx4 s[12:15], s[2:3], 0x0
	s_mov_b64 s[0:1], s[20:21]
	s_waitcnt lgkmcnt(0)
	v_mov_b32_e32 v1, s22
	v_mov_b32_e32 v2, s23
	v_cmp_lt_u64_e32 vcc, s[20:21], v[1:2]
	s_cbranch_vccnz .LBB0_4
; %bb.3:
	v_cvt_f32_u32_e32 v1, s22
	s_sub_i32 s0, 0, s22
	v_rcp_iflag_f32_e32 v1, v1
	v_mul_f32_e32 v1, 0x4f7ffffe, v1
	v_cvt_u32_f32_e32 v1, v1
	v_readfirstlane_b32 s1, v1
	s_mul_i32 s0, s0, s1
	s_mul_hi_u32 s0, s1, s0
	s_add_i32 s1, s1, s0
	s_mul_hi_u32 s0, s20, s1
	s_mul_i32 s0, s0, s22
	s_sub_i32 s0, s20, s0
	s_sub_i32 s1, s0, s22
	s_cmp_ge_u32 s0, s22
	s_cselect_b32 s0, s1, s0
	s_sub_i32 s1, s0, s22
	s_cmp_ge_u32 s0, s22
	s_cselect_b32 s0, s1, s0
.LBB0_4:
	s_mul_i32 s1, s22, s19
	s_mul_hi_u32 s13, s22, s18
	s_add_i32 s1, s13, s1
	s_mul_i32 s13, s23, s18
	s_mul_i32 s24, s22, s18
	s_add_i32 s25, s1, s13
	s_load_dwordx2 s[22:23], s[2:3], 0x10
	v_mov_b32_e32 v1, s24
	v_mov_b32_e32 v2, s25
	v_cmp_lt_u64_e32 vcc, s[6:7], v[1:2]
	s_mov_b64 s[26:27], 0
	s_cbranch_vccnz .LBB0_6
; %bb.5:
	v_cvt_f32_u32_e32 v1, s24
	s_sub_i32 s1, 0, s24
	v_rcp_iflag_f32_e32 v1, v1
	v_mul_f32_e32 v1, 0x4f7ffffe, v1
	v_cvt_u32_f32_e32 v1, v1
	v_readfirstlane_b32 s7, v1
	s_mul_i32 s1, s1, s7
	s_mul_hi_u32 s1, s7, s1
	s_add_i32 s7, s7, s1
	s_mul_hi_u32 s1, s6, s7
	s_mul_i32 s13, s1, s24
	s_sub_i32 s13, s6, s13
	s_add_i32 s7, s1, 1
	s_sub_i32 s15, s13, s24
	s_cmp_ge_u32 s13, s24
	s_cselect_b32 s1, s7, s1
	s_cselect_b32 s13, s15, s13
	s_add_i32 s7, s1, 1
	s_cmp_ge_u32 s13, s24
	s_cselect_b32 s26, s7, s1
.LBB0_6:
	s_mul_i32 s1, s20, s19
	s_mul_hi_u32 s7, s20, s18
	s_add_i32 s7, s7, s1
	s_mul_i32 s1, s20, s18
	s_sub_u32 s6, s6, s1
	s_load_dword s1, s[2:3], 0x18
	s_subb_u32 s7, 0, s7
	s_lshl_b64 s[2:3], s[6:7], 4
	s_mul_i32 s6, s14, s2
	s_waitcnt lgkmcnt(0)
	s_mul_i32 s0, s22, s0
	s_add_i32 s0, s0, s6
	s_mul_i32 s1, s1, s26
	s_add_i32 s6, s1, s0
	v_and_b32_e32 v26, 15, v0
	s_add_u32 s0, s2, 16
	v_lshrrev_b32_e32 v36, 4, v0
	v_mov_b32_e32 v1, s10
	v_or_b32_e32 v31, s2, v26
	v_mov_b32_e32 v32, s3
	s_addc_u32 s1, s3, 0
	v_mad_u64_u32 v[29:30], s[2:3], s14, v26, 0
	v_mul_lo_u32 v3, s12, v36
	v_mov_b32_e32 v2, s11
	v_or_b32_e32 v7, 48, v36
	v_cmp_le_u64_e32 vcc, s[0:1], v[1:2]
	v_mul_lo_u32 v2, s12, v7
	v_cmp_gt_u64_e64 s[0:1], s[10:11], v[31:32]
	v_add_lshl_u32 v1, v29, v3, 3
	s_or_b64 s[2:3], vcc, s[0:1]
	v_cndmask_b32_e64 v8, -1, v1, s[2:3]
	v_add_lshl_u32 v1, v29, v2, 3
	v_or_b32_e32 v2, 0x60, v36
	v_mul_lo_u32 v2, s12, v2
	v_or_b32_e32 v3, 0x90, v36
	v_mul_lo_u32 v3, s12, v3
	v_cndmask_b32_e64 v9, -1, v1, s[2:3]
	v_add_lshl_u32 v1, v29, v2, 3
	s_lshl_b32 s13, s6, 3
	s_mov_b32 s11, 0x20000
	s_mov_b32 s10, -2
	v_cndmask_b32_e64 v10, -1, v1, s[2:3]
	v_add_lshl_u32 v11, v29, v3, 3
	buffer_load_dwordx2 v[1:2], v8, s[8:11], s13 offen
	buffer_load_dwordx2 v[3:4], v9, s[8:11], s13 offen
	;; [unrolled: 1-line block ×3, first 2 shown]
	v_or_b32_e32 v27, 16, v36
	v_or_b32_e32 v10, 64, v36
	v_cndmask_b32_e64 v8, -1, v11, s[2:3]
	v_or_b32_e32 v11, 0x70, v36
	v_or_b32_e32 v12, 0xa0, v36
	v_mul_lo_u32 v13, s12, v27
	v_mul_lo_u32 v10, s12, v10
	;; [unrolled: 1-line block ×4, first 2 shown]
	v_add_lshl_u32 v13, v29, v13, 3
	v_add_lshl_u32 v10, v29, v10, 3
	;; [unrolled: 1-line block ×4, first 2 shown]
	v_cndmask_b32_e64 v18, -1, v13, s[2:3]
	v_cndmask_b32_e64 v19, -1, v10, s[2:3]
	v_or_b32_e32 v28, 32, v36
	buffer_load_dwordx2 v[8:9], v8, s[8:11], s13 offen
	v_cndmask_b32_e64 v20, -1, v11, s[2:3]
	v_cndmask_b32_e64 v21, -1, v12, s[2:3]
	buffer_load_dwordx2 v[10:11], v18, s[8:11], s13 offen
	buffer_load_dwordx2 v[12:13], v19, s[8:11], s13 offen
	buffer_load_dwordx2 v[14:15], v20, s[8:11], s13 offen
	buffer_load_dwordx2 v[16:17], v21, s[8:11], s13 offen
	v_mul_lo_u32 v18, s12, v28
	v_or_b32_e32 v19, 0x50, v36
	v_mul_lo_u32 v19, s12, v19
	v_or_b32_e32 v20, 0x80, v36
	v_add_lshl_u32 v18, v29, v18, 3
	v_mul_lo_u32 v20, s12, v20
	v_cndmask_b32_e64 v22, -1, v18, s[2:3]
	v_add_lshl_u32 v18, v29, v19, 3
	v_or_b32_e32 v19, 0xb0, v36
	v_mul_lo_u32 v23, s12, v19
	v_cndmask_b32_e64 v30, -1, v18, s[2:3]
	v_add_lshl_u32 v18, v29, v20, 3
	v_cndmask_b32_e64 v24, -1, v18, s[2:3]
	buffer_load_dwordx2 v[18:19], v22, s[8:11], s13 offen
	buffer_load_dwordx2 v[20:21], v24, s[8:11], s13 offen
	v_add_lshl_u32 v22, v29, v23, 3
	v_cndmask_b32_e64 v32, -1, v22, s[2:3]
	buffer_load_dwordx2 v[22:23], v32, s[8:11], s13 offen
	buffer_load_dwordx2 v[24:25], v30, s[8:11], s13 offen
	v_lshlrev_b32_e32 v26, 3, v26
	s_movk_i32 s2, 0xfe80
	s_movk_i32 s14, 0xc0
	s_waitcnt vmcnt(9)
	v_sub_f32_e32 v5, v1, v5
	v_sub_f32_e32 v6, v2, v6
	v_fma_f32 v30, v1, 2.0, -v5
	v_fma_f32 v32, v2, 2.0, -v6
	s_waitcnt vmcnt(8)
	v_sub_f32_e32 v8, v3, v8
	v_sub_f32_e32 v9, v4, v9
	v_fma_f32 v3, v3, 2.0, -v8
	v_fma_f32 v4, v4, 2.0, -v9
	v_add_f32_e32 v2, v6, v8
	v_lshlrev_b32_e32 v8, 9, v36
	v_sub_f32_e32 v1, v5, v9
	v_sub_f32_e32 v3, v30, v3
	;; [unrolled: 1-line block ×3, first 2 shown]
	v_add3_u32 v8, 0, v8, v26
	v_fma_f32 v5, v5, 2.0, -v1
	v_fma_f32 v6, v6, 2.0, -v2
	ds_write2_b64 v8, v[3:4], v[1:2] offset0:32 offset1:48
	v_fma_f32 v1, v30, 2.0, -v3
	v_fma_f32 v2, v32, 2.0, -v4
	ds_write2_b64 v8, v[1:2], v[5:6] offset1:16
	s_waitcnt vmcnt(5)
	v_sub_f32_e32 v8, v10, v14
	v_sub_f32_e32 v9, v11, v15
	s_waitcnt vmcnt(4)
	v_sub_f32_e32 v6, v12, v16
	v_sub_f32_e32 v5, v13, v17
	v_fma_f32 v3, v10, 2.0, -v8
	v_fma_f32 v4, v11, 2.0, -v9
	;; [unrolled: 1-line block ×4, first 2 shown]
	v_sub_f32_e32 v1, v3, v1
	v_sub_f32_e32 v2, v4, v2
	;; [unrolled: 1-line block ×3, first 2 shown]
	v_add_f32_e32 v6, v9, v6
	v_lshlrev_b32_e32 v10, 9, v27
	v_fma_f32 v3, v3, 2.0, -v1
	v_fma_f32 v4, v4, 2.0, -v2
	;; [unrolled: 1-line block ×4, first 2 shown]
	v_add3_u32 v32, 0, v10, v26
	ds_write2_b64 v32, v[3:4], v[8:9] offset1:16
	ds_write2_b64 v32, v[1:2], v[5:6] offset0:32 offset1:48
	s_waitcnt vmcnt(2)
	v_sub_f32_e32 v8, v18, v20
	v_sub_f32_e32 v9, v19, v21
	s_waitcnt vmcnt(0)
	v_sub_f32_e32 v6, v24, v22
	v_sub_f32_e32 v5, v25, v23
	v_fma_f32 v3, v18, 2.0, -v8
	v_fma_f32 v4, v19, 2.0, -v9
	;; [unrolled: 1-line block ×4, first 2 shown]
	v_sub_f32_e32 v1, v3, v1
	v_sub_f32_e32 v2, v4, v2
	;; [unrolled: 1-line block ×3, first 2 shown]
	v_add_f32_e32 v6, v9, v6
	v_lshlrev_b32_e32 v10, 9, v28
	v_fma_f32 v3, v3, 2.0, -v1
	v_fma_f32 v4, v4, 2.0, -v2
	;; [unrolled: 1-line block ×4, first 2 shown]
	v_add3_u32 v20, 0, v10, v26
	v_bfe_u32 v25, v0, 4, 2
	ds_write2_b64 v20, v[3:4], v[8:9] offset1:16
	ds_write2_b64 v20, v[1:2], v[5:6] offset0:32 offset1:48
	v_lshlrev_b32_e32 v1, 4, v25
	s_waitcnt lgkmcnt(0)
	s_barrier
	global_load_dwordx4 v[1:4], v1, s[16:17]
	v_and_b32_e32 v5, 0xf0, v0
	v_lshlrev_b32_e32 v5, 3, v5
	v_add3_u32 v30, 0, v5, v26
	ds_read2st64_b64 v[8:11], v30 offset0:20 offset1:24
	ds_read2st64_b64 v[12:15], v30 offset0:36 offset1:40
	;; [unrolled: 1-line block ×3, first 2 shown]
	s_waitcnt vmcnt(0) lgkmcnt(2)
	v_mul_f32_e32 v5, v2, v9
	v_mul_f32_e32 v21, v2, v8
	;; [unrolled: 1-line block ×3, first 2 shown]
	s_waitcnt lgkmcnt(1)
	v_mul_f32_e32 v23, v4, v13
	v_mul_f32_e32 v24, v4, v12
	;; [unrolled: 1-line block ×5, first 2 shown]
	v_fma_f32 v38, v1, v8, -v5
	v_fmac_f32_e32 v21, v1, v9
	v_fmac_f32_e32 v22, v1, v11
	v_fma_f32 v23, v3, v12, -v23
	v_fmac_f32_e32 v24, v3, v13
	v_fma_f32 v40, v3, v14, -v33
	ds_read_b64 v[8:9], v30 offset:22528
	ds_read2st64_b64 v[11:14], v30 offset1:16
	s_waitcnt lgkmcnt(2)
	v_mul_f32_e32 v34, v4, v19
	v_fma_f32 v39, v1, v10, -v6
	v_lshlrev_b32_e32 v10, 7, v7
	v_fma_f32 v33, v3, v18, -v34
	v_add3_u32 v34, 0, v10, v26
	s_waitcnt lgkmcnt(1)
	v_mul_f32_e32 v10, v9, v4
	v_mul_f32_e32 v37, v4, v18
	v_fma_f32 v43, v8, v3, -v10
	v_mul_f32_e32 v8, v8, v4
	v_fmac_f32_e32 v35, v3, v15
	v_fmac_f32_e32 v37, v3, v19
	v_mul_f32_e32 v5, v2, v17
	v_fmac_f32_e32 v8, v9, v3
	s_waitcnt lgkmcnt(0)
	v_mul_f32_e32 v3, v2, v14
	v_fma_f32 v41, v1, v16, -v5
	v_mul_f32_e32 v42, v2, v16
	v_mad_i32_i24 v5, v27, s2, v32
	v_mad_i32_i24 v6, v28, s2, v20
	v_fma_f32 v4, v1, v13, -v3
	v_mul_f32_e32 v3, v2, v13
	v_fmac_f32_e32 v42, v1, v17
	ds_read_b64 v[15:16], v6
	ds_read_b64 v[17:18], v5
	;; [unrolled: 1-line block ×3, first 2 shown]
	v_fmac_f32_e32 v3, v1, v14
	v_add_f32_e32 v1, v4, v33
	v_add_f32_e32 v2, v3, v37
	v_fma_f32 v9, -0.5, v1, v11
	v_fma_f32 v10, -0.5, v2, v12
	v_add_f32_e32 v1, v11, v4
	v_add_f32_e32 v2, v12, v3
	v_sub_f32_e32 v11, v3, v37
	v_mov_b32_e32 v3, v9
	v_fmac_f32_e32 v3, 0x3f5db3d7, v11
	v_fmac_f32_e32 v9, 0xbf5db3d7, v11
	v_sub_f32_e32 v11, v4, v33
	v_mov_b32_e32 v4, v10
	v_add_f32_e32 v12, v38, v23
	v_fmac_f32_e32 v4, 0xbf5db3d7, v11
	v_fmac_f32_e32 v10, 0x3f5db3d7, v11
	s_waitcnt lgkmcnt(1)
	v_add_f32_e32 v11, v17, v38
	v_fma_f32 v17, -0.5, v12, v17
	v_sub_f32_e32 v12, v21, v24
	v_mov_b32_e32 v32, v17
	v_add_f32_e32 v13, v21, v24
	v_fmac_f32_e32 v32, 0x3f5db3d7, v12
	v_fmac_f32_e32 v17, 0xbf5db3d7, v12
	v_add_f32_e32 v12, v18, v21
	v_fmac_f32_e32 v18, -0.5, v13
	v_add_f32_e32 v1, v1, v33
	v_sub_f32_e32 v13, v38, v23
	v_mov_b32_e32 v33, v18
	v_fmac_f32_e32 v33, 0xbf5db3d7, v13
	v_fmac_f32_e32 v18, 0x3f5db3d7, v13
	v_add_f32_e32 v13, v15, v39
	v_add_f32_e32 v19, v13, v40
	;; [unrolled: 1-line block ×3, first 2 shown]
	v_fma_f32 v15, -0.5, v13, v15
	v_mov_b32_e32 v13, v15
	v_sub_f32_e32 v14, v22, v35
	v_fmac_f32_e32 v13, 0x3f5db3d7, v14
	v_fmac_f32_e32 v15, 0xbf5db3d7, v14
	v_add_f32_e32 v14, v16, v22
	v_add_f32_e32 v20, v14, v35
	;; [unrolled: 1-line block ×3, first 2 shown]
	v_fmac_f32_e32 v16, -0.5, v14
	v_sub_f32_e32 v21, v39, v40
	v_mov_b32_e32 v14, v16
	v_add_f32_e32 v22, v41, v43
	v_fmac_f32_e32 v14, 0xbf5db3d7, v21
	v_fmac_f32_e32 v16, 0x3f5db3d7, v21
	s_waitcnt lgkmcnt(0)
	v_add_f32_e32 v21, v5, v41
	v_fma_f32 v5, -0.5, v22, v5
	v_add_f32_e32 v11, v11, v23
	v_mov_b32_e32 v23, v5
	v_sub_f32_e32 v22, v42, v8
	v_fmac_f32_e32 v23, 0x3f5db3d7, v22
	v_fmac_f32_e32 v5, 0xbf5db3d7, v22
	v_add_f32_e32 v22, v6, v42
	v_add_f32_e32 v22, v22, v8
	;; [unrolled: 1-line block ×3, first 2 shown]
	v_fmac_f32_e32 v6, -0.5, v8
	v_add_f32_e32 v12, v12, v24
	v_sub_f32_e32 v8, v41, v43
	v_mov_b32_e32 v24, v6
	v_fmac_f32_e32 v24, 0xbf5db3d7, v8
	v_fmac_f32_e32 v6, 0x3f5db3d7, v8
	v_lshrrev_b32_e32 v8, 6, v0
	v_mul_u32_u24_e32 v8, 12, v8
	v_or_b32_e32 v8, v8, v25
	v_lshlrev_b32_e32 v8, 7, v8
	v_add_f32_e32 v2, v2, v37
	v_add3_u32 v8, 0, v8, v26
	s_barrier
	ds_write2st64_b64 v8, v[1:2], v[3:4] offset1:1
	ds_write_b64 v8, v[9:10] offset:1024
	v_lshrrev_b32_e32 v8, 2, v27
	v_mul_u32_u24_e32 v8, 12, v8
	v_or_b32_e32 v8, v8, v25
	v_lshlrev_b32_e32 v8, 7, v8
	v_add3_u32 v8, 0, v8, v26
	ds_write2st64_b64 v8, v[11:12], v[32:33] offset1:1
	ds_write_b64 v8, v[17:18] offset:1024
	v_lshrrev_b32_e32 v8, 2, v28
	v_lshrrev_b32_e32 v7, 2, v7
	v_mul_u32_u24_e32 v8, 12, v8
	v_mul_u32_u24_e32 v7, 12, v7
	v_or_b32_e32 v8, v8, v25
	v_or_b32_e32 v7, v7, v25
	v_lshlrev_b32_e32 v8, 7, v8
	v_lshlrev_b32_e32 v7, 7, v7
	v_add_f32_e32 v21, v21, v43
	v_add3_u32 v8, 0, v8, v26
	v_add3_u32 v7, 0, v7, v26
	v_cmp_gt_u32_e64 s[2:3], s14, v0
	ds_write2st64_b64 v8, v[19:20], v[13:14] offset1:1
	ds_write_b64 v8, v[15:16] offset:1024
	ds_write2st64_b64 v7, v[21:22], v[23:24] offset1:1
	ds_write_b64 v7, v[5:6] offset:1024
	s_waitcnt lgkmcnt(0)
	s_barrier
	s_waitcnt lgkmcnt(0)
                                        ; implicit-def: $vgpr35
                                        ; implicit-def: $vgpr26
	s_and_saveexec_b64 s[6:7], s[2:3]
	s_cbranch_execz .LBB0_8
; %bb.7:
	ds_read2st64_b64 v[1:4], v30 offset1:3
	ds_read2st64_b64 v[9:12], v30 offset0:6 offset1:9
	ds_read2st64_b64 v[17:20], v30 offset0:15 offset1:18
	;; [unrolled: 1-line block ×6, first 2 shown]
	ds_read_b64 v[32:33], v34
	ds_read_b64 v[34:35], v30 offset:23040
.LBB0_8:
	s_or_b64 exec, exec, s[6:7]
	v_mul_lo_u16_e32 v30, 22, v36
	v_mov_b32_e32 v37, 12
	v_mul_lo_u16_sdwa v30, v30, v37 dst_sel:DWORD dst_unused:UNUSED_PAD src0_sel:BYTE_1 src1_sel:DWORD
	v_sub_u16_e32 v30, v36, v30
	v_and_b32_e32 v36, 0xff, v30
	v_mul_u32_u24_e32 v30, 15, v36
	v_lshlrev_b32_e32 v30, 3, v30
	global_load_dwordx4 v[37:40], v30, s[16:17] offset:96
	global_load_dwordx4 v[41:44], v30, s[16:17] offset:112
	;; [unrolled: 1-line block ×3, first 2 shown]
	s_load_dwordx2 s[2:3], s[4:5], 0x8
	v_cmp_gt_u32_e64 s[4:5], s14, v0
	s_waitcnt vmcnt(2) lgkmcnt(0)
	v_mul_f32_e32 v49, v18, v38
	v_mul_f32_e32 v50, v17, v38
	v_mul_f32_e32 v38, v20, v40
	v_mul_f32_e32 v51, v19, v40
	v_fma_f32 v49, v17, v37, -v49
	v_fmac_f32_e32 v50, v18, v37
	v_fma_f32 v52, v19, v39, -v38
	v_fmac_f32_e32 v51, v20, v39
	global_load_dwordx4 v[17:20], v30, s[16:17] offset:80
	global_load_dwordx4 v[37:40], v30, s[16:17] offset:64
	s_waitcnt vmcnt(3)
	v_mul_f32_e32 v53, v14, v42
	v_mul_f32_e32 v54, v13, v42
	;; [unrolled: 1-line block ×4, first 2 shown]
	v_fma_f32 v53, v13, v41, -v53
	v_fmac_f32_e32 v54, v14, v41
	v_fma_f32 v55, v15, v43, -v42
	v_fmac_f32_e32 v44, v16, v43
	global_load_dwordx4 v[13:16], v30, s[16:17] offset:144
	s_waitcnt vmcnt(3)
	v_mul_f32_e32 v41, v22, v46
	v_mul_f32_e32 v43, v21, v46
	v_mul_f32_e32 v42, v24, v48
	v_mul_f32_e32 v46, v23, v48
	v_fma_f32 v48, v21, v45, -v41
	v_fmac_f32_e32 v43, v22, v45
	v_fma_f32 v45, v23, v47, -v42
	v_fmac_f32_e32 v46, v24, v47
	global_load_dwordx4 v[21:24], v30, s[16:17] offset:160
	global_load_dwordx2 v[41:42], v30, s[16:17] offset:176
	s_waitcnt vmcnt(4)
	v_mul_f32_e32 v47, v33, v20
	v_mul_f32_e32 v20, v32, v20
	v_fma_f32 v32, v32, v19, -v47
	v_fmac_f32_e32 v20, v33, v19
	v_mul_f32_e32 v19, v12, v18
	v_mul_f32_e32 v18, v11, v18
	v_fma_f32 v11, v11, v17, -v19
	v_fmac_f32_e32 v18, v12, v17
	s_waitcnt vmcnt(3)
	v_mul_f32_e32 v17, v9, v40
	v_mul_f32_e32 v12, v10, v40
	s_waitcnt vmcnt(2)
	v_mul_f32_e32 v19, v6, v14
	v_mul_f32_e32 v14, v5, v14
	v_fmac_f32_e32 v17, v10, v39
	v_mul_f32_e32 v10, v8, v16
	v_mul_f32_e32 v30, v4, v38
	v_mul_f32_e32 v38, v3, v38
	v_fma_f32 v9, v9, v39, -v12
	v_mul_f32_e32 v12, v7, v16
	v_fmac_f32_e32 v14, v6, v13
	v_fma_f32 v6, v7, v15, -v10
	s_waitcnt vmcnt(1)
	v_mul_f32_e32 v16, v26, v22
	v_mul_f32_e32 v22, v25, v22
	v_fmac_f32_e32 v38, v4, v37
	v_mul_f32_e32 v4, v28, v24
	v_mul_f32_e32 v24, v27, v24
	s_waitcnt vmcnt(0)
	v_mul_f32_e32 v33, v34, v42
	v_fmac_f32_e32 v12, v8, v15
	v_sub_f32_e32 v10, v1, v55
	v_sub_f32_e32 v6, v32, v6
	v_fma_f32 v3, v3, v37, -v30
	v_mul_f32_e32 v30, v35, v42
	v_fma_f32 v5, v5, v13, -v19
	v_fma_f32 v7, v25, v21, -v16
	v_fmac_f32_e32 v22, v26, v21
	v_fma_f32 v4, v27, v23, -v4
	v_fmac_f32_e32 v24, v28, v23
	v_fmac_f32_e32 v33, v35, v41
	v_sub_f32_e32 v13, v2, v44
	v_sub_f32_e32 v12, v20, v12
	v_fma_f32 v1, v1, 2.0, -v10
	v_fma_f32 v21, v32, 2.0, -v6
	v_fma_f32 v8, v34, v41, -v30
	v_sub_f32_e32 v15, v9, v45
	v_sub_f32_e32 v16, v17, v46
	;; [unrolled: 1-line block ×10, first 2 shown]
	v_add_f32_e32 v30, v13, v6
	v_fma_f32 v20, v20, 2.0, -v12
	v_fma_f32 v9, v9, 2.0, -v15
	;; [unrolled: 1-line block ×4, first 2 shown]
	v_sub_f32_e32 v28, v38, v43
	v_fma_f32 v18, v18, 2.0, -v14
	v_fma_f32 v34, v54, 2.0, -v35
	;; [unrolled: 1-line block ×5, first 2 shown]
	v_sub_f32_e32 v19, v15, v19
	v_add_f32_e32 v43, v16, v4
	v_sub_f32_e32 v1, v25, v22
	v_fma_f32 v2, v2, 2.0, -v13
	v_fma_f32 v17, v17, 2.0, -v16
	;; [unrolled: 1-line block ×3, first 2 shown]
	v_sub_f32_e32 v5, v11, v5
	v_sub_f32_e32 v8, v53, v8
	;; [unrolled: 1-line block ×3, first 2 shown]
	v_fma_f32 v44, v15, 2.0, -v19
	v_fma_f32 v45, v16, 2.0, -v43
	;; [unrolled: 1-line block ×3, first 2 shown]
	v_sub_f32_e32 v25, v18, v34
	v_mov_b32_e32 v15, v6
	v_mov_b32_e32 v16, v12
	v_fma_f32 v27, v38, 2.0, -v28
	v_sub_f32_e32 v7, v49, v7
	v_fma_f32 v32, v50, 2.0, -v22
	v_sub_f32_e32 v38, v2, v20
	v_fma_f32 v10, v9, 2.0, -v13
	v_fma_f32 v34, v18, 2.0, -v25
	v_sub_f32_e32 v9, v5, v35
	v_add_f32_e32 v18, v14, v8
	v_fmac_f32_e32 v15, 0xbf3504f3, v44
	v_fmac_f32_e32 v16, 0xbf3504f3, v45
	v_mul_lo_u32 v35, v31, v36
	v_fma_f32 v40, v2, 2.0, -v38
	v_sub_f32_e32 v21, v27, v32
	v_add_f32_e32 v2, v28, v7
	v_fma_f32 v32, v14, 2.0, -v18
	v_fmac_f32_e32 v15, 0xbf3504f3, v45
	v_fmac_f32_e32 v16, 0x3f3504f3, v44
	v_mov_b32_e32 v14, v30
	v_fma_f32 v26, v49, 2.0, -v7
	v_fma_f32 v11, v11, 2.0, -v5
	;; [unrolled: 1-line block ×3, first 2 shown]
	v_sub_f32_e32 v42, v17, v24
	v_fma_f32 v24, v28, 2.0, -v2
	v_fma_f32 v28, v5, 2.0, -v9
	;; [unrolled: 1-line block ×4, first 2 shown]
	v_add_f32_e32 v12, v38, v13
	v_mov_b32_e32 v13, v41
	v_fmac_f32_e32 v14, 0x3f3504f3, v43
	v_fma_f32 v17, v17, 2.0, -v42
	v_sub_f32_e32 v20, v3, v26
	v_sub_f32_e32 v22, v11, v33
	v_fmac_f32_e32 v13, 0x3f3504f3, v19
	v_fmac_f32_e32 v14, 0x3f3504f3, v19
	v_mov_b32_e32 v19, 3
	v_fma_f32 v26, v3, 2.0, -v20
	v_fma_f32 v33, v11, 2.0, -v22
	v_sub_f32_e32 v3, v39, v10
	v_sub_f32_e32 v4, v40, v17
	;; [unrolled: 1-line block ×3, first 2 shown]
	v_lshlrev_b32_sdwa v42, v19, v35 dst_sel:DWORD dst_unused:UNUSED_PAD src0_sel:DWORD src1_sel:BYTE_0
	v_fma_f32 v10, v39, 2.0, -v3
	v_fma_f32 v17, v40, 2.0, -v4
	;; [unrolled: 1-line block ×4, first 2 shown]
	v_lshlrev_b32_sdwa v35, v19, v35 dst_sel:DWORD dst_unused:UNUSED_PAD src0_sel:DWORD src1_sel:BYTE_1
	global_load_dwordx2 v[37:38], v42, s[2:3]
	global_load_dwordx2 v[39:40], v35, s[2:3] offset:2048
	v_add_u32_e32 v35, 12, v36
	v_mul_lo_u32 v35, v31, v35
	v_fma_f32 v27, v27, 2.0, -v21
	v_fmac_f32_e32 v13, 0xbf3504f3, v43
	v_sub_f32_e32 v50, v26, v33
	v_lshlrev_b32_sdwa v33, v19, v35 dst_sel:DWORD dst_unused:UNUSED_PAD src0_sel:DWORD src1_sel:BYTE_0
	v_fma_f32 v49, v41, 2.0, -v13
	v_sub_f32_e32 v51, v27, v34
	v_lshlrev_b32_sdwa v34, v19, v35 dst_sel:DWORD dst_unused:UNUSED_PAD src0_sel:DWORD src1_sel:BYTE_1
	global_load_dwordx2 v[41:42], v33, s[2:3]
	global_load_dwordx2 v[43:44], v34, s[2:3] offset:2048
	v_add_f32_e32 v53, v21, v22
	v_add_u32_e32 v22, 24, v36
	v_mul_lo_u32 v22, v31, v22
	v_mov_b32_e32 v33, v23
	v_fmac_f32_e32 v33, 0xbf3504f3, v28
	v_mov_b32_e32 v34, v24
	v_fmac_f32_e32 v33, 0xbf3504f3, v32
	v_fmac_f32_e32 v34, 0xbf3504f3, v32
	v_fma_f32 v32, v23, 2.0, -v33
	v_lshlrev_b32_sdwa v23, v19, v22 dst_sel:DWORD dst_unused:UNUSED_PAD src0_sel:DWORD src1_sel:BYTE_0
	v_lshlrev_b32_sdwa v22, v19, v22 dst_sel:DWORD dst_unused:UNUSED_PAD src0_sel:DWORD src1_sel:BYTE_1
	global_load_dwordx2 v[45:46], v23, s[2:3]
	global_load_dwordx2 v[47:48], v22, s[2:3] offset:2048
	v_mov_b32_e32 v55, v2
	v_fmac_f32_e32 v34, 0x3f3504f3, v28
	v_sub_f32_e32 v52, v20, v25
	v_mov_b32_e32 v54, v1
	v_fmac_f32_e32 v55, 0x3f3504f3, v18
	v_mov_b32_e32 v28, v5
	v_fma_f32 v30, v30, 2.0, -v14
	v_fma_f32 v26, v26, 2.0, -v50
	;; [unrolled: 1-line block ×4, first 2 shown]
	v_fmac_f32_e32 v54, 0x3f3504f3, v9
	v_fmac_f32_e32 v55, 0x3f3504f3, v9
	;; [unrolled: 1-line block ×3, first 2 shown]
	v_mov_b32_e32 v23, v6
	v_mov_b32_e32 v25, v7
	v_fma_f32 v21, v21, 2.0, -v53
	v_fmac_f32_e32 v54, 0xbf3504f3, v18
	v_fma_f32 v2, v2, 2.0, -v55
	v_sub_f32_e32 v56, v10, v26
	v_fmac_f32_e32 v23, 0xbf6c835e, v24
	v_fmac_f32_e32 v28, 0xbec3ef15, v24
	;; [unrolled: 1-line block ×3, first 2 shown]
	v_mov_b32_e32 v26, v8
	v_mov_b32_e32 v24, v30
	v_fma_f32 v1, v1, 2.0, -v54
	v_fmac_f32_e32 v26, 0xbf3504f3, v21
	v_fmac_f32_e32 v25, 0xbf3504f3, v21
	v_mov_b32_e32 v21, v49
	v_fmac_f32_e32 v24, 0xbec3ef15, v2
	v_fmac_f32_e32 v21, 0xbec3ef15, v1
	;; [unrolled: 1-line block ×3, first 2 shown]
	v_add_u32_e32 v1, 36, v36
	v_mul_lo_u32 v1, v31, v1
	v_fmac_f32_e32 v23, 0x3ec3ef15, v32
	v_mov_b32_e32 v32, v12
	v_fma_f32 v27, v27, 2.0, -v51
	v_fmac_f32_e32 v26, 0x3f3504f3, v20
	v_fmac_f32_e32 v21, 0xbf6c835e, v2
	v_mov_b32_e32 v20, v11
	v_fmac_f32_e32 v32, 0x3f3504f3, v53
	v_sub_f32_e32 v27, v17, v27
	v_fmac_f32_e32 v20, 0x3f3504f3, v52
	v_fmac_f32_e32 v32, 0x3f3504f3, v52
	v_fma_f32 v57, v10, 2.0, -v56
	v_fma_f32 v58, v17, 2.0, -v27
	v_mov_b32_e32 v35, v16
	v_mov_b32_e32 v22, v15
	v_fmac_f32_e32 v35, 0x3ec3ef15, v34
	v_fmac_f32_e32 v22, 0x3ec3ef15, v33
	;; [unrolled: 1-line block ×3, first 2 shown]
	v_mov_b32_e32 v33, v13
	v_fmac_f32_e32 v22, 0xbf6c835e, v34
	v_fmac_f32_e32 v33, 0x3f6c835e, v54
	v_mov_b32_e32 v34, v14
	v_fmac_f32_e32 v34, 0x3f6c835e, v55
	v_fmac_f32_e32 v33, 0xbec3ef15, v55
	;; [unrolled: 1-line block ×3, first 2 shown]
	s_waitcnt vmcnt(4)
	v_mul_f32_e32 v2, v38, v40
	v_fma_f32 v52, v37, v39, -v2
	v_lshlrev_b32_sdwa v2, v19, v1 dst_sel:DWORD dst_unused:UNUSED_PAD src0_sel:DWORD src1_sel:BYTE_0
	v_lshlrev_b32_sdwa v1, v19, v1 dst_sel:DWORD dst_unused:UNUSED_PAD src0_sel:DWORD src1_sel:BYTE_1
	global_load_dwordx2 v[9:10], v2, s[2:3]
	global_load_dwordx2 v[17:18], v1, s[2:3] offset:2048
	v_or_b32_e32 v1, 48, v36
	v_mul_lo_u32 v1, v31, v1
	v_mul_f32_e32 v2, v37, v40
	v_fmac_f32_e32 v2, v38, v39
	v_sub_f32_e32 v60, v3, v51
	v_lshlrev_b32_sdwa v55, v19, v1 dst_sel:DWORD dst_unused:UNUSED_PAD src0_sel:DWORD src1_sel:BYTE_0
	v_lshlrev_b32_sdwa v1, v19, v1 dst_sel:DWORD dst_unused:UNUSED_PAD src0_sel:DWORD src1_sel:BYTE_1
	s_waitcnt vmcnt(4)
	v_mul_f32_e32 v53, v42, v44
	global_load_dwordx2 v[37:38], v55, s[2:3]
	global_load_dwordx2 v[39:40], v1, s[2:3] offset:2048
	v_add_u32_e32 v1, 60, v36
	v_fma_f32 v53, v41, v43, -v53
	v_mul_f32_e32 v55, v41, v44
	v_mul_lo_u32 v41, v31, v1
	v_mul_f32_e32 v1, v2, v58
	v_fma_f32 v1, v52, v57, -v1
	v_mul_f32_e32 v2, v2, v57
	v_lshlrev_b32_sdwa v57, v19, v41 dst_sel:DWORD dst_unused:UNUSED_PAD src0_sel:DWORD src1_sel:BYTE_0
	v_fmac_f32_e32 v55, v42, v43
	v_lshlrev_b32_sdwa v59, v19, v41 dst_sel:DWORD dst_unused:UNUSED_PAD src0_sel:DWORD src1_sel:BYTE_1
	global_load_dwordx2 v[41:42], v57, s[2:3]
	global_load_dwordx2 v[43:44], v59, s[2:3] offset:2048
	v_fma_f32 v57, v5, 2.0, -v28
	s_waitcnt vmcnt(6)
	v_mul_f32_e32 v5, v46, v48
	v_fmac_f32_e32 v2, v52, v58
	v_fma_f32 v52, v45, v47, -v5
	v_add_u32_e32 v5, 0x48, v36
	v_mul_f32_e32 v58, v45, v48
	v_mul_lo_u32 v45, v31, v5
	v_fma_f32 v59, v6, 2.0, -v23
	v_mul_f32_e32 v5, v55, v59
	v_mul_f32_e32 v6, v55, v57
	v_lshlrev_b32_sdwa v55, v19, v45 dst_sel:DWORD dst_unused:UNUSED_PAD src0_sel:DWORD src1_sel:BYTE_0
	v_fmac_f32_e32 v58, v46, v47
	v_fma_f32 v5, v53, v57, -v5
	v_lshlrev_b32_sdwa v57, v19, v45 dst_sel:DWORD dst_unused:UNUSED_PAD src0_sel:DWORD src1_sel:BYTE_1
	global_load_dwordx2 v[45:46], v55, s[2:3]
	global_load_dwordx2 v[47:48], v57, s[2:3] offset:2048
	v_fma_f32 v57, v8, 2.0, -v26
	v_add_f32_e32 v61, v4, v50
	v_fma_f32 v55, v7, 2.0, -v25
	v_fma_f32 v62, v3, 2.0, -v60
	;; [unrolled: 1-line block ×3, first 2 shown]
	v_mul_f32_e32 v3, v57, v58
	v_fma_f32 v7, v55, v52, -v3
	v_fma_f32 v49, v49, 2.0, -v21
	v_fma_f32 v30, v30, 2.0, -v24
	v_mul_f32_e32 v8, v55, v58
	v_fmac_f32_e32 v8, v57, v52
	v_fmac_f32_e32 v6, v53, v59
	v_fma_f32 v16, v16, 2.0, -v35
	v_fma_f32 v15, v15, 2.0, -v22
	;; [unrolled: 1-line block ×4, first 2 shown]
	v_fmac_f32_e32 v34, 0x3ec3ef15, v54
	v_fma_f32 v54, v14, 2.0, -v34
	s_waitcnt vmcnt(6)
	v_mul_f32_e32 v4, v9, v18
	v_mul_f32_e32 v3, v10, v18
	v_fmac_f32_e32 v4, v10, v17
	v_add_u32_e32 v10, 0x54, v36
	v_mul_lo_u32 v10, v31, v10
	v_fma_f32 v50, v9, v17, -v3
	v_mul_f32_e32 v3, v30, v4
	v_mul_f32_e32 v4, v49, v4
	v_fmac_f32_e32 v4, v30, v50
	s_waitcnt vmcnt(4)
	v_mul_f32_e32 v9, v38, v40
	v_fma_f32 v17, v37, v39, -v9
	v_mul_f32_e32 v18, v37, v40
	v_lshlrev_b32_sdwa v9, v19, v10 dst_sel:DWORD dst_unused:UNUSED_PAD src0_sel:DWORD src1_sel:BYTE_0
	v_fmac_f32_e32 v18, v38, v39
	v_lshlrev_b32_sdwa v10, v19, v10 dst_sel:DWORD dst_unused:UNUSED_PAD src0_sel:DWORD src1_sel:BYTE_1
	global_load_dwordx2 v[37:38], v9, s[2:3]
	global_load_dwordx2 v[39:40], v10, s[2:3] offset:2048
	v_or_b32_e32 v9, 0x60, v36
	v_mul_lo_u32 v9, v31, v9
	v_fma_f32 v3, v49, v50, -v3
	s_waitcnt vmcnt(4)
	v_mul_f32_e32 v10, v42, v44
	v_fma_f32 v30, v41, v43, -v10
	v_lshlrev_b32_sdwa v10, v19, v9 dst_sel:DWORD dst_unused:UNUSED_PAD src0_sel:DWORD src1_sel:BYTE_0
	v_lshlrev_b32_sdwa v9, v19, v9 dst_sel:DWORD dst_unused:UNUSED_PAD src0_sel:DWORD src1_sel:BYTE_1
	global_load_dwordx2 v[49:50], v10, s[2:3]
	global_load_dwordx2 v[51:52], v9, s[2:3] offset:2048
	v_add_u32_e32 v9, 0x6c, v36
	v_mul_f32_e32 v53, v41, v44
	v_mul_lo_u32 v41, v31, v9
	v_mul_f32_e32 v9, v63, v18
	v_mul_f32_e32 v10, v62, v18
	v_fmac_f32_e32 v53, v42, v43
	v_lshlrev_b32_sdwa v18, v19, v41 dst_sel:DWORD dst_unused:UNUSED_PAD src0_sel:DWORD src1_sel:BYTE_0
	v_lshlrev_b32_sdwa v55, v19, v41 dst_sel:DWORD dst_unused:UNUSED_PAD src0_sel:DWORD src1_sel:BYTE_1
	global_load_dwordx2 v[41:42], v18, s[2:3]
	global_load_dwordx2 v[43:44], v55, s[2:3] offset:2048
	v_fma_f32 v9, v62, v17, -v9
	v_fmac_f32_e32 v10, v63, v17
	s_waitcnt vmcnt(6)
	v_mul_f32_e32 v17, v46, v48
	v_fma_f32 v55, v45, v47, -v17
	v_add_u32_e32 v17, 0x78, v36
	v_mul_f32_e32 v57, v45, v48
	v_mul_lo_u32 v45, v31, v17
	v_mul_f32_e32 v17, v16, v53
	v_fma_f32 v17, v15, v30, -v17
	v_mul_f32_e32 v18, v15, v53
	v_lshlrev_b32_sdwa v15, v19, v45 dst_sel:DWORD dst_unused:UNUSED_PAD src0_sel:DWORD src1_sel:BYTE_0
	v_fmac_f32_e32 v57, v46, v47
	v_lshlrev_b32_sdwa v53, v19, v45 dst_sel:DWORD dst_unused:UNUSED_PAD src0_sel:DWORD src1_sel:BYTE_1
	global_load_dwordx2 v[45:46], v15, s[2:3]
	global_load_dwordx2 v[47:48], v53, s[2:3] offset:2048
	v_fma_f32 v53, v13, 2.0, -v33
	v_mul_f32_e32 v13, v12, v57
	v_fmac_f32_e32 v18, v16, v30
	v_fma_f32 v15, v11, v55, -v13
	v_mul_f32_e32 v16, v11, v57
	v_fmac_f32_e32 v16, v12, v55
	s_waitcnt vmcnt(6)
	v_mul_f32_e32 v11, v38, v40
	v_fma_f32 v11, v37, v39, -v11
	v_mul_f32_e32 v12, v37, v40
	v_add_u32_e32 v37, 0x84, v36
	v_fmac_f32_e32 v12, v38, v39
	v_mul_lo_u32 v37, v31, v37
	v_mul_f32_e32 v13, v54, v12
	v_mul_f32_e32 v14, v53, v12
	v_fma_f32 v13, v53, v11, -v13
	s_waitcnt vmcnt(4)
	v_mul_f32_e32 v12, v49, v52
	v_fmac_f32_e32 v14, v54, v11
	v_mul_f32_e32 v11, v50, v52
	v_fmac_f32_e32 v12, v50, v51
	v_fma_f32 v30, v49, v51, -v11
	v_mul_f32_e32 v11, v27, v12
	v_mul_f32_e32 v12, v56, v12
	v_fma_f32 v11, v56, v30, -v11
	v_fmac_f32_e32 v12, v27, v30
	s_waitcnt vmcnt(2)
	v_mul_f32_e32 v27, v42, v44
	v_lshlrev_b32_sdwa v30, v19, v37 dst_sel:DWORD dst_unused:UNUSED_PAD src0_sel:DWORD src1_sel:BYTE_0
	v_lshlrev_b32_sdwa v49, v19, v37 dst_sel:DWORD dst_unused:UNUSED_PAD src0_sel:DWORD src1_sel:BYTE_1
	v_or_b32_e32 v37, 0x90, v36
	v_mul_f32_e32 v53, v41, v44
	v_add_u32_e32 v44, 0x9c, v36
	v_mul_lo_u32 v50, v31, v37
	v_mul_lo_u32 v44, v31, v44
	global_load_dwordx2 v[37:38], v30, s[2:3]
	global_load_dwordx2 v[39:40], v49, s[2:3] offset:2048
	v_fma_f32 v30, v41, v43, -v27
	v_lshlrev_b32_sdwa v27, v19, v50 dst_sel:DWORD dst_unused:UNUSED_PAD src0_sel:DWORD src1_sel:BYTE_0
	v_lshlrev_b32_sdwa v41, v19, v50 dst_sel:DWORD dst_unused:UNUSED_PAD src0_sel:DWORD src1_sel:BYTE_1
	v_lshlrev_b32_sdwa v54, v19, v44 dst_sel:DWORD dst_unused:UNUSED_PAD src0_sel:DWORD src1_sel:BYTE_0
	global_load_dwordx2 v[49:50], v27, s[2:3]
	global_load_dwordx2 v[51:52], v41, s[2:3] offset:2048
	v_fmac_f32_e32 v53, v42, v43
	v_lshlrev_b32_sdwa v55, v19, v44 dst_sel:DWORD dst_unused:UNUSED_PAD src0_sel:DWORD src1_sel:BYTE_1
	global_load_dwordx2 v[41:42], v54, s[2:3]
	global_load_dwordx2 v[43:44], v55, s[2:3] offset:2048
	v_add_u32_e32 v54, 0xa8, v36
	v_mul_lo_u32 v54, v31, v54
	v_add_u32_e32 v55, 0xb4, v36
	s_waitcnt vmcnt(6)
	v_mul_f32_e32 v27, v46, v48
	v_mul_lo_u32 v31, v31, v55
	v_fma_f32 v57, v45, v47, -v27
	v_mul_f32_e32 v58, v45, v48
	v_lshlrev_b32_sdwa v27, v19, v54 dst_sel:DWORD dst_unused:UNUSED_PAD src0_sel:DWORD src1_sel:BYTE_0
	v_fmac_f32_e32 v58, v46, v47
	v_lshlrev_b32_sdwa v54, v19, v54 dst_sel:DWORD dst_unused:UNUSED_PAD src0_sel:DWORD src1_sel:BYTE_1
	global_load_dwordx2 v[45:46], v27, s[2:3]
	global_load_dwordx2 v[47:48], v54, s[2:3] offset:2048
	v_mul_f32_e32 v27, v23, v53
	v_lshlrev_b32_sdwa v59, v19, v31 dst_sel:DWORD dst_unused:UNUSED_PAD src0_sel:DWORD src1_sel:BYTE_0
	v_fma_f32 v27, v28, v30, -v27
	v_mul_f32_e32 v28, v28, v53
	v_lshlrev_b32_sdwa v19, v19, v31 dst_sel:DWORD dst_unused:UNUSED_PAD src0_sel:DWORD src1_sel:BYTE_1
	global_load_dwordx2 v[53:54], v59, s[2:3]
	global_load_dwordx2 v[55:56], v19, s[2:3] offset:2048
	v_fmac_f32_e32 v28, v23, v30
	v_mul_f32_e32 v19, v26, v58
	v_fma_f32 v30, v25, v57, -v19
	v_mul_f32_e32 v31, v25, v58
	v_fmac_f32_e32 v31, v26, v57
	s_movk_i32 s2, 0xbf
	v_cmp_lt_u32_e64 s[2:3], s2, v0
	s_or_b64 vcc, s[2:3], vcc
	s_waitcnt vmcnt(8)
	v_mul_f32_e32 v23, v37, v40
	v_mul_f32_e32 v19, v38, v40
	v_fmac_f32_e32 v23, v38, v39
	v_fma_f32 v19, v37, v39, -v19
	v_mul_f32_e32 v25, v24, v23
	v_fma_f32 v25, v21, v19, -v25
	v_mul_f32_e32 v26, v21, v23
	s_waitcnt vmcnt(6)
	v_mul_f32_e32 v21, v49, v52
	v_fmac_f32_e32 v26, v24, v19
	v_mul_f32_e32 v19, v50, v52
	v_fmac_f32_e32 v21, v50, v51
	v_fma_f32 v19, v49, v51, -v19
	v_mul_f32_e32 v23, v61, v21
	v_mul_f32_e32 v24, v60, v21
	s_waitcnt vmcnt(4)
	v_mul_f32_e32 v37, v41, v44
	v_fma_f32 v23, v60, v19, -v23
	v_fmac_f32_e32 v24, v61, v19
	v_mul_f32_e32 v19, v42, v44
	v_fmac_f32_e32 v37, v42, v43
	v_fma_f32 v19, v41, v43, -v19
	v_mul_f32_e32 v21, v35, v37
	v_fma_f32 v21, v22, v19, -v21
	v_mul_f32_e32 v22, v22, v37
	s_waitcnt vmcnt(2)
	v_mul_f32_e32 v37, v45, v48
	v_fmac_f32_e32 v22, v35, v19
	v_mul_f32_e32 v19, v46, v48
	v_fmac_f32_e32 v37, v46, v47
	v_fma_f32 v35, v45, v47, -v19
	v_mul_f32_e32 v19, v32, v37
	v_fma_f32 v19, v20, v35, -v19
	v_mul_f32_e32 v20, v20, v37
	s_waitcnt vmcnt(0)
	v_mul_f32_e32 v37, v53, v56
	v_fmac_f32_e32 v20, v32, v35
	v_mul_f32_e32 v32, v54, v56
	v_fmac_f32_e32 v37, v54, v55
	v_fma_f32 v35, v53, v55, -v32
	v_mul_f32_e32 v32, v34, v37
	v_fma_f32 v32, v33, v35, -v32
	v_mul_f32_e32 v33, v33, v37
	v_fmac_f32_e32 v33, v34, v35
	v_mul_u32_u24_e32 v34, 0x156, v0
	v_mul_lo_u16_sdwa v34, v34, s14 dst_sel:DWORD dst_unused:UNUSED_PAD src0_sel:WORD_1 src1_sel:DWORD
	v_sub_u16_e32 v34, v0, v34
	v_sub_u32_e32 v34, v0, v34
	v_add_u32_e32 v34, v34, v36
	v_mul_lo_u32 v35, s12, v34
	v_cndmask_b32_e64 v0, 0, 1, s[4:5]
	v_cndmask_b32_e64 v36, 0, 1, s[0:1]
	v_cndmask_b32_e32 v0, v36, v0, vcc
	v_add_u32_e32 v36, 12, v34
	v_mul_lo_u32 v36, s12, v36
	v_and_b32_e32 v0, 1, v0
	v_add_lshl_u32 v35, v29, v35, 3
	v_cmp_eq_u32_e32 vcc, 1, v0
	v_cndmask_b32_e32 v0, -1, v35, vcc
	buffer_store_dwordx2 v[1:2], v0, s[8:11], s13 offen
	v_add_lshl_u32 v0, v29, v36, 3
	v_cndmask_b32_e32 v0, -1, v0, vcc
	v_add_u32_e32 v1, 24, v34
	buffer_store_dwordx2 v[5:6], v0, s[8:11], s13 offen
	v_add_u32_e32 v0, 36, v34
	v_mul_lo_u32 v1, s12, v1
	v_mul_lo_u32 v0, s12, v0
	v_add_lshl_u32 v1, v29, v1, 3
	v_add_lshl_u32 v0, v29, v0, 3
	v_cndmask_b32_e32 v1, -1, v1, vcc
	v_cndmask_b32_e32 v0, -1, v0, vcc
	buffer_store_dwordx2 v[7:8], v1, s[8:11], s13 offen
	v_add_u32_e32 v1, 48, v34
	buffer_store_dwordx2 v[3:4], v0, s[8:11], s13 offen
	v_add_u32_e32 v0, 60, v34
	v_mul_lo_u32 v1, s12, v1
	v_mul_lo_u32 v0, s12, v0
	v_add_lshl_u32 v1, v29, v1, 3
	v_add_lshl_u32 v0, v29, v0, 3
	v_cndmask_b32_e32 v1, -1, v1, vcc
	v_cndmask_b32_e32 v0, -1, v0, vcc
	buffer_store_dwordx2 v[9:10], v1, s[8:11], s13 offen
	;; [unrolled: 10-line block ×7, first 2 shown]
	buffer_store_dwordx2 v[32:33], v0, s[8:11], s13 offen
	s_endpgm
	.section	.rodata,"a",@progbits
	.p2align	6, 0x0
	.amdhsa_kernel fft_rtc_fwd_len192_factors_4_3_16_wgs_256_tpt_16_dim3_sp_ip_CI_sbcc_twdbase8_2step_dirReg_intrinsicReadWrite
		.amdhsa_group_segment_fixed_size 0
		.amdhsa_private_segment_fixed_size 0
		.amdhsa_kernarg_size 88
		.amdhsa_user_sgpr_count 6
		.amdhsa_user_sgpr_private_segment_buffer 1
		.amdhsa_user_sgpr_dispatch_ptr 0
		.amdhsa_user_sgpr_queue_ptr 0
		.amdhsa_user_sgpr_kernarg_segment_ptr 1
		.amdhsa_user_sgpr_dispatch_id 0
		.amdhsa_user_sgpr_flat_scratch_init 0
		.amdhsa_user_sgpr_private_segment_size 0
		.amdhsa_uses_dynamic_stack 0
		.amdhsa_system_sgpr_private_segment_wavefront_offset 0
		.amdhsa_system_sgpr_workgroup_id_x 1
		.amdhsa_system_sgpr_workgroup_id_y 0
		.amdhsa_system_sgpr_workgroup_id_z 0
		.amdhsa_system_sgpr_workgroup_info 0
		.amdhsa_system_vgpr_workitem_id 0
		.amdhsa_next_free_vgpr 64
		.amdhsa_next_free_sgpr 28
		.amdhsa_reserve_vcc 1
		.amdhsa_reserve_flat_scratch 0
		.amdhsa_float_round_mode_32 0
		.amdhsa_float_round_mode_16_64 0
		.amdhsa_float_denorm_mode_32 3
		.amdhsa_float_denorm_mode_16_64 3
		.amdhsa_dx10_clamp 1
		.amdhsa_ieee_mode 1
		.amdhsa_fp16_overflow 0
		.amdhsa_exception_fp_ieee_invalid_op 0
		.amdhsa_exception_fp_denorm_src 0
		.amdhsa_exception_fp_ieee_div_zero 0
		.amdhsa_exception_fp_ieee_overflow 0
		.amdhsa_exception_fp_ieee_underflow 0
		.amdhsa_exception_fp_ieee_inexact 0
		.amdhsa_exception_int_div_zero 0
	.end_amdhsa_kernel
	.text
.Lfunc_end0:
	.size	fft_rtc_fwd_len192_factors_4_3_16_wgs_256_tpt_16_dim3_sp_ip_CI_sbcc_twdbase8_2step_dirReg_intrinsicReadWrite, .Lfunc_end0-fft_rtc_fwd_len192_factors_4_3_16_wgs_256_tpt_16_dim3_sp_ip_CI_sbcc_twdbase8_2step_dirReg_intrinsicReadWrite
                                        ; -- End function
	.section	.AMDGPU.csdata,"",@progbits
; Kernel info:
; codeLenInByte = 5964
; NumSgprs: 32
; NumVgprs: 64
; ScratchSize: 0
; MemoryBound: 0
; FloatMode: 240
; IeeeMode: 1
; LDSByteSize: 0 bytes/workgroup (compile time only)
; SGPRBlocks: 3
; VGPRBlocks: 15
; NumSGPRsForWavesPerEU: 32
; NumVGPRsForWavesPerEU: 64
; Occupancy: 4
; WaveLimiterHint : 0
; COMPUTE_PGM_RSRC2:SCRATCH_EN: 0
; COMPUTE_PGM_RSRC2:USER_SGPR: 6
; COMPUTE_PGM_RSRC2:TRAP_HANDLER: 0
; COMPUTE_PGM_RSRC2:TGID_X_EN: 1
; COMPUTE_PGM_RSRC2:TGID_Y_EN: 0
; COMPUTE_PGM_RSRC2:TGID_Z_EN: 0
; COMPUTE_PGM_RSRC2:TIDIG_COMP_CNT: 0
	.type	__hip_cuid_ec31ecb7fe062d1,@object ; @__hip_cuid_ec31ecb7fe062d1
	.section	.bss,"aw",@nobits
	.globl	__hip_cuid_ec31ecb7fe062d1
__hip_cuid_ec31ecb7fe062d1:
	.byte	0                               ; 0x0
	.size	__hip_cuid_ec31ecb7fe062d1, 1

	.ident	"AMD clang version 19.0.0git (https://github.com/RadeonOpenCompute/llvm-project roc-6.4.0 25133 c7fe45cf4b819c5991fe208aaa96edf142730f1d)"
	.section	".note.GNU-stack","",@progbits
	.addrsig
	.addrsig_sym __hip_cuid_ec31ecb7fe062d1
	.amdgpu_metadata
---
amdhsa.kernels:
  - .args:
      - .actual_access:  read_only
        .address_space:  global
        .offset:         0
        .size:           8
        .value_kind:     global_buffer
      - .address_space:  global
        .offset:         8
        .size:           8
        .value_kind:     global_buffer
      - .actual_access:  read_only
        .address_space:  global
        .offset:         16
        .size:           8
        .value_kind:     global_buffer
      - .actual_access:  read_only
        .address_space:  global
        .offset:         24
        .size:           8
        .value_kind:     global_buffer
      - .offset:         32
        .size:           8
        .value_kind:     by_value
      - .actual_access:  read_only
        .address_space:  global
        .offset:         40
        .size:           8
        .value_kind:     global_buffer
      - .actual_access:  read_only
        .address_space:  global
        .offset:         48
        .size:           8
        .value_kind:     global_buffer
      - .offset:         56
        .size:           4
        .value_kind:     by_value
      - .actual_access:  read_only
        .address_space:  global
        .offset:         64
        .size:           8
        .value_kind:     global_buffer
      - .actual_access:  read_only
        .address_space:  global
        .offset:         72
        .size:           8
        .value_kind:     global_buffer
      - .address_space:  global
        .offset:         80
        .size:           8
        .value_kind:     global_buffer
    .group_segment_fixed_size: 0
    .kernarg_segment_align: 8
    .kernarg_segment_size: 88
    .language:       OpenCL C
    .language_version:
      - 2
      - 0
    .max_flat_workgroup_size: 256
    .name:           fft_rtc_fwd_len192_factors_4_3_16_wgs_256_tpt_16_dim3_sp_ip_CI_sbcc_twdbase8_2step_dirReg_intrinsicReadWrite
    .private_segment_fixed_size: 0
    .sgpr_count:     32
    .sgpr_spill_count: 0
    .symbol:         fft_rtc_fwd_len192_factors_4_3_16_wgs_256_tpt_16_dim3_sp_ip_CI_sbcc_twdbase8_2step_dirReg_intrinsicReadWrite.kd
    .uniform_work_group_size: 1
    .uses_dynamic_stack: false
    .vgpr_count:     64
    .vgpr_spill_count: 0
    .wavefront_size: 64
amdhsa.target:   amdgcn-amd-amdhsa--gfx906
amdhsa.version:
  - 1
  - 2
...

	.end_amdgpu_metadata
